;; amdgpu-corpus repo=zjin-lcf/HeCBench kind=compiled arch=gfx1030 opt=O3
	.amdgcn_target "amdgcn-amd-amdhsa--gfx1030"
	.amdhsa_code_object_version 6
	.text
	.protected	_Z26MurmurHash3_x64_128_kernelPKhPKjS2_Pmj ; -- Begin function _Z26MurmurHash3_x64_128_kernelPKhPKjS2_Pmj
	.globl	_Z26MurmurHash3_x64_128_kernelPKhPKjS2_Pmj
	.p2align	8
	.type	_Z26MurmurHash3_x64_128_kernelPKhPKjS2_Pmj,@function
_Z26MurmurHash3_x64_128_kernelPKhPKjS2_Pmj: ; @_Z26MurmurHash3_x64_128_kernelPKhPKjS2_Pmj
; %bb.0:
	s_clause 0x1
	s_load_dword s0, s[4:5], 0x34
	s_load_dword s1, s[4:5], 0x20
	s_waitcnt lgkmcnt(0)
	s_and_b32 s0, s0, 0xffff
	v_mad_u64_u32 v[0:1], null, s6, s0, v[0:1]
	s_mov_b32 s0, exec_lo
	v_cmpx_gt_u32_e64 s1, v0
	s_cbranch_execz .LBB0_56
; %bb.1:
	s_load_dwordx8 s[4:11], s[4:5], 0x0
	v_mov_b32_e32 v1, 0
	s_mov_b32 s1, exec_lo
	v_lshlrev_b64 v[2:3], 2, v[0:1]
	s_waitcnt lgkmcnt(0)
	v_add_co_u32 v4, vcc_lo, s8, v2
	v_add_co_ci_u32_e64 v5, null, s9, v3, vcc_lo
	v_add_co_u32 v2, vcc_lo, s6, v2
	v_add_co_ci_u32_e64 v3, null, s7, v3, vcc_lo
	global_load_dword v13, v[4:5], off
	global_load_dword v7, v[2:3], off
	v_mov_b32_e32 v2, v1
	v_mov_b32_e32 v1, v0
	;; [unrolled: 1-line block ×4, first 2 shown]
	s_waitcnt vmcnt(1)
	v_cmpx_lt_u32_e32 15, v13
	s_cbranch_execz .LBB0_5
; %bb.2:
	s_waitcnt vmcnt(0)
	v_add_co_u32 v3, s0, s4, v7
	v_add_co_ci_u32_e64 v4, null, s5, 0, s0
	v_lshrrev_b32_e32 v8, 4, v13
	v_add_co_u32 v5, vcc_lo, v3, 14
	v_add_co_ci_u32_e64 v6, null, 0, v4, vcc_lo
	v_mov_b32_e32 v4, v2
	v_mov_b32_e32 v9, 16
	;; [unrolled: 1-line block ×4, first 2 shown]
	s_mov_b32 s2, 0
.LBB0_3:                                ; =>This Inner Loop Header: Depth=1
	s_clause 0x1
	global_load_dwordx4 v[14:17], v[5:6], off offset:-14
	global_load_dword v11, v[5:6], off offset:-14
	v_add_nc_u32_e32 v8, -1, v8
	v_cmp_eq_u32_e64 s0, 0, v8
	s_or_b32 s2, s0, s2
	s_waitcnt vmcnt(1)
	v_and_b32_e32 v14, 0xff00, v15
	v_and_b32_e32 v20, 0xff000000, v15
	v_lshlrev_b32_sdwa v21, v9, v15 dst_sel:DWORD dst_unused:UNUSED_PAD src0_sel:DWORD src1_sel:BYTE_2
	v_lshlrev_b32_sdwa v22, v10, v17 dst_sel:DWORD dst_unused:UNUSED_PAD src0_sel:DWORD src1_sel:BYTE_1
	s_waitcnt vmcnt(0)
	v_mul_lo_u32 v25, 0x87c37b91, v11
	v_or_b32_sdwa v14, v15, v14 dst_sel:DWORD dst_unused:UNUSED_PAD src0_sel:BYTE_0 src1_sel:DWORD
	v_mul_hi_u32 v26, 0x114253d5, v11
	v_mul_lo_u32 v27, 0x88a129ea, v11
	v_mad_u64_u32 v[11:12], null, 0x80000000, v11, 0
	v_or3_b32 v14, v14, v21, v20
	v_mul_lo_u32 v28, 0x4cf5ad43, v16
	v_mad_u64_u32 v[18:19], null, 0x2745937f, v16, 0
	v_mul_lo_u32 v29, 0x4e8b26fe, v16
	v_mul_lo_u32 v16, 0x114253d5, v14
	v_lshlrev_b32_e32 v14, 31, v14
	v_and_b32_e32 v23, 0xff000000, v17
	v_lshlrev_b32_sdwa v24, v9, v17 dst_sel:DWORD dst_unused:UNUSED_PAD src0_sel:DWORD src1_sel:BYTE_2
	v_or_b32_sdwa v15, v17, v22 dst_sel:DWORD dst_unused:UNUSED_PAD src0_sel:BYTE_0 src1_sel:DWORD
	v_add3_u32 v12, v12, v27, v14
	v_add3_u32 v14, v26, v25, v16
	v_or3_b32 v15, v15, v24, v23
	v_mul_lo_u32 v20, 0x2745937f, v12
	v_lshrrev_b32_e32 v12, 1, v14
	v_mul_lo_u32 v15, 0x2745937f, v15
	v_or_b32_e32 v11, v12, v11
	v_add3_u32 v19, v19, v28, v15
	v_mul_lo_u32 v21, 0x4cf5ad43, v11
	v_mad_u64_u32 v[11:12], null, 0x2745937f, v11, 0
	v_lshrrev_b64 v[14:15], 31, v[18:19]
	v_alignbit_b32 v16, v19, v18, 31
	v_add3_u32 v12, v12, v21, v20
	v_or_b32_e32 v14, v15, v29
	v_xor_b32_e32 v1, v11, v1
	v_mul_lo_u32 v18, 0x87c37b91, v16
	v_mad_u64_u32 v[16:17], null, 0x114253d5, v16, 0
	v_xor_b32_e32 v2, v12, v2
	v_mul_lo_u32 v12, 0x114253d5, v14
	v_lshlrev_b64 v[14:15], 27, v[1:2]
	v_lshrrev_b32_e32 v1, 5, v2
	v_xor_b32_e32 v11, v16, v3
	v_add3_u32 v2, v17, v18, v12
	v_or_b32_e32 v1, v14, v1
	v_xor_b32_e32 v12, v2, v4
	v_add_co_u32 v1, vcc_lo, v1, v3
	v_add_co_ci_u32_e64 v14, null, v15, v4, vcc_lo
	v_lshlrev_b64 v[3:4], 31, v[11:12]
	v_mad_u64_u32 v[1:2], null, v1, 5, 0x52dce729
	v_lshrrev_b32_e32 v11, 1, v12
	v_or_b32_e32 v11, v3, v11
	v_mad_u64_u32 v[2:3], null, v14, 5, v[2:3]
	v_add_co_u32 v3, vcc_lo, v11, v1
	v_add_co_ci_u32_e64 v11, null, v4, v2, vcc_lo
	v_mad_u64_u32 v[3:4], null, v3, 5, 0x38495ab5
	v_mad_u64_u32 v[11:12], null, v11, 5, v[4:5]
	v_add_co_u32 v5, vcc_lo, v5, 16
	v_add_co_ci_u32_e64 v6, null, 0, v6, vcc_lo
	v_mov_b32_e32 v4, v11
	s_andn2_b32 exec_lo, exec_lo, s2
	s_cbranch_execnz .LBB0_3
; %bb.4:
	s_or_b32 exec_lo, exec_lo, s2
.LBB0_5:
	s_or_b32 exec_lo, exec_lo, s1
	v_and_b32_e32 v5, -16, v13
	s_waitcnt vmcnt(0)
	v_add_co_u32 v6, s0, s4, v7
	v_add_co_ci_u32_e64 v7, null, s5, 0, s0
	v_and_b32_e32 v14, 15, v13
	v_add_co_u32 v5, vcc_lo, v6, v5
	v_add_co_ci_u32_e64 v6, null, 0, v7, vcc_lo
	s_mov_b32 s0, 0
	s_mov_b32 s2, 0
	s_mov_b32 s1, exec_lo
                                        ; implicit-def: $vgpr9_vgpr10
                                        ; implicit-def: $vgpr7_vgpr8
	v_cmpx_lt_i32_e32 7, v14
	s_xor_b32 s1, exec_lo, s1
	s_cbranch_execz .LBB0_29
; %bb.6:
	s_mov_b32 s4, 0
	s_mov_b32 s3, exec_lo
                                        ; implicit-def: $vgpr7_vgpr8
	v_cmpx_lt_i32_e32 11, v14
	s_xor_b32 s3, exec_lo, s3
	s_cbranch_execz .LBB0_16
; %bb.7:
	s_mov_b32 s5, exec_lo
                                        ; implicit-def: $vgpr9_vgpr10
	v_cmpx_lt_i32_e32 13, v14
	s_xor_b32 s5, exec_lo, s5
	s_cbranch_execz .LBB0_11
; %bb.8:
	v_mov_b32_e32 v9, 0
	v_mov_b32_e32 v10, 0
	s_mov_b32 s4, exec_lo
	v_cmpx_lt_i32_e32 14, v14
	s_cbranch_execz .LBB0_10
; %bb.9:
	v_mov_b32_e32 v10, 0
	v_mov_b32_e32 v9, 0
	global_load_ubyte_d16_hi v10, v[5:6], off offset:14
.LBB0_10:
	s_or_b32 exec_lo, exec_lo, s4
	global_load_ubyte v7, v[5:6], off offset:13
	s_mov_b32 s4, exec_lo
	s_waitcnt vmcnt(0)
	v_lshlrev_b32_e32 v7, 8, v7
	v_or_b32_e32 v10, v7, v10
.LBB0_11:
	s_andn2_saveexec_b32 s5, s5
; %bb.12:
	v_cmp_lt_i32_e32 vcc_lo, 12, v14
	v_mov_b32_e32 v9, 0
	v_mov_b32_e32 v10, 0
	s_andn2_b32 s4, s4, exec_lo
	s_and_b32 s6, vcc_lo, exec_lo
	s_or_b32 s4, s4, s6
; %bb.13:
	s_or_b32 exec_lo, exec_lo, s5
	v_mov_b32_e32 v7, 0
	v_mov_b32_e32 v8, 0
	s_and_saveexec_b32 s5, s4
	s_cbranch_execz .LBB0_15
; %bb.14:
	global_load_ubyte v7, v[5:6], off offset:12
	s_waitcnt vmcnt(0)
	v_xor_b32_e32 v10, v7, v10
	v_mov_b32_e32 v7, v9
	v_mov_b32_e32 v8, v10
.LBB0_15:
	s_or_b32 exec_lo, exec_lo, s5
	global_load_ubyte v9, v[5:6], off offset:11
	s_mov_b32 s4, exec_lo
	s_waitcnt vmcnt(0)
	v_lshlrev_b32_e32 v9, 24, v9
	v_xor_b32_e32 v7, v9, v7
.LBB0_16:
	s_or_saveexec_b32 s5, s3
	s_mov_b32 s3, 0
	s_xor_b32 exec_lo, exec_lo, s5
	s_cbranch_execz .LBB0_20
; %bb.17:
	s_mov_b32 s3, -1
	s_mov_b32 s6, s4
	s_mov_b32 s7, exec_lo
	v_cmpx_lt_i32_e32 9, v14
; %bb.18:
	v_cmp_lt_i32_e32 vcc_lo, 10, v14
	s_andn2_b32 s6, s4, exec_lo
	s_mov_b32 s2, exec_lo
	s_xor_b32 s3, exec_lo, -1
	s_and_b32 s8, vcc_lo, exec_lo
	s_or_b32 s6, s6, s8
; %bb.19:
	s_or_b32 exec_lo, exec_lo, s7
	v_mov_b32_e32 v7, 0
	v_mov_b32_e32 v8, 0
	s_andn2_b32 s4, s4, exec_lo
	s_and_b32 s6, s6, exec_lo
	s_and_b32 s3, s3, exec_lo
	;; [unrolled: 1-line block ×3, first 2 shown]
	s_or_b32 s4, s4, s6
.LBB0_20:
	s_or_b32 exec_lo, exec_lo, s5
	v_mov_b32_e32 v9, 0
	v_mov_b32_e32 v10, 0
	s_and_saveexec_b32 s5, s4
	s_cbranch_execz .LBB0_22
; %bb.21:
	global_load_ubyte v9, v[5:6], off offset:10
	s_or_b32 s2, s2, exec_lo
	s_waitcnt vmcnt(0)
	v_lshlrev_b32_e32 v9, 16, v9
	v_xor_b32_e32 v7, v9, v7
	v_mov_b32_e32 v10, v8
	v_mov_b32_e32 v9, v7
.LBB0_22:
	s_or_b32 exec_lo, exec_lo, s5
	s_mov_b32 s4, 0
	s_and_saveexec_b32 s5, s2
	s_xor_b32 s2, exec_lo, s5
	s_cbranch_execz .LBB0_24
; %bb.23:
	global_load_ubyte v7, v[5:6], off offset:9
	s_mov_b32 s4, exec_lo
	s_waitcnt vmcnt(0)
	v_lshlrev_b32_e32 v7, 8, v7
	v_xor_b32_e32 v9, v7, v9
.LBB0_24:
	s_or_b32 exec_lo, exec_lo, s2
	s_and_saveexec_b32 s2, s3
; %bb.25:
	v_cmp_lt_i32_e32 vcc_lo, 8, v14
	v_mov_b32_e32 v9, 0
	v_mov_b32_e32 v10, 0
	s_andn2_b32 s3, s4, exec_lo
	s_and_b32 s4, vcc_lo, exec_lo
	s_or_b32 s4, s3, s4
; %bb.26:
	s_or_b32 exec_lo, exec_lo, s2
	v_mov_b32_e32 v8, v4
	v_mov_b32_e32 v7, v3
	s_and_saveexec_b32 s2, s4
	s_cbranch_execz .LBB0_28
; %bb.27:
	global_load_ubyte v7, v[5:6], off offset:8
	v_mul_lo_u32 v10, 0x2745937f, v10
	s_waitcnt vmcnt(0)
	v_xor_b32_e32 v9, v9, v7
	v_mul_lo_u32 v11, 0x4cf5ad43, v9
	v_mad_u64_u32 v[7:8], null, 0x2745937f, v9, 0
	v_add3_u32 v8, v8, v11, v10
	v_mul_lo_u32 v11, 0x4e8b26fe, v9
	v_lshrrev_b64 v[9:10], 31, v[7:8]
	v_alignbit_b32 v7, v8, v7, 31
	v_or_b32_e32 v9, v10, v11
	v_mul_lo_u32 v10, 0x87c37b91, v7
	v_mad_u64_u32 v[7:8], null, 0x114253d5, v7, 0
	v_mul_lo_u32 v9, 0x114253d5, v9
	v_xor_b32_e32 v7, v7, v3
	v_add3_u32 v8, v8, v10, v9
	v_xor_b32_e32 v8, v8, v4
.LBB0_28:
	s_or_b32 exec_lo, exec_lo, s2
	global_load_ubyte v9, v[5:6], off offset:7
	s_mov_b32 s2, exec_lo
	s_waitcnt vmcnt(0)
	v_lshlrev_b32_e32 v10, 24, v9
	v_mov_b32_e32 v9, 0
.LBB0_29:
	s_or_saveexec_b32 s3, s1
	s_mov_b32 s4, 0
	s_mov_b32 s1, 0
	s_xor_b32 exec_lo, exec_lo, s3
	s_cbranch_execz .LBB0_35
; %bb.30:
	s_mov_b32 s5, 0
	s_mov_b32 s4, -1
	s_mov_b32 s6, s2
	s_mov_b32 s7, 0
	s_mov_b32 s0, exec_lo
	v_cmpx_lt_i32_e32 3, v14
	s_cbranch_execz .LBB0_34
; %bb.31:
	s_mov_b32 s6, -1
	s_mov_b32 s5, s2
	s_mov_b32 s4, exec_lo
	v_cmpx_lt_i32_e32 5, v14
; %bb.32:
	v_cmp_lt_i32_e32 vcc_lo, 6, v14
	s_andn2_b32 s5, s2, exec_lo
	s_mov_b32 s1, exec_lo
	s_xor_b32 s6, exec_lo, -1
	s_and_b32 s7, vcc_lo, exec_lo
	s_or_b32 s5, s5, s7
; %bb.33:
	s_or_b32 exec_lo, exec_lo, s4
	s_and_b32 s7, s6, exec_lo
	s_andn2_b32 s6, s2, exec_lo
	s_and_b32 s8, s5, exec_lo
	s_xor_b32 s4, exec_lo, -1
	s_and_b32 s5, s1, exec_lo
	s_or_b32 s6, s6, s8
.LBB0_34:
	s_or_b32 exec_lo, exec_lo, s0
	v_mov_b32_e32 v9, 0
	v_mov_b32_e32 v8, v4
	;; [unrolled: 1-line block ×4, first 2 shown]
	s_andn2_b32 s2, s2, exec_lo
	s_and_b32 s6, s6, exec_lo
	s_and_b32 s1, s4, exec_lo
	;; [unrolled: 1-line block ×4, first 2 shown]
	s_or_b32 s2, s2, s6
.LBB0_35:
	s_or_b32 exec_lo, exec_lo, s3
	v_mov_b32_e32 v11, 0
	v_mov_b32_e32 v12, 0
	s_and_saveexec_b32 s3, s2
	s_cbranch_execz .LBB0_37
; %bb.36:
	v_mov_b32_e32 v11, 0
	s_or_b32 s0, s0, exec_lo
	global_load_ubyte_d16_hi v11, v[5:6], off offset:6
	s_waitcnt vmcnt(0)
	v_or_b32_e32 v10, v11, v10
	v_mov_b32_e32 v12, v10
	v_mov_b32_e32 v11, v9
.LBB0_37:
	s_or_b32 exec_lo, exec_lo, s3
	s_mov_b32 s3, 0
	s_mov_b32 s2, 0
	s_and_saveexec_b32 s5, s0
	s_xor_b32 s0, exec_lo, s5
	s_cbranch_execz .LBB0_39
; %bb.38:
	global_load_ubyte v9, v[5:6], off offset:5
	s_mov_b32 s2, exec_lo
	s_waitcnt vmcnt(0)
	v_lshlrev_b32_e32 v9, 8, v9
	v_xor_b32_e32 v12, v9, v12
.LBB0_39:
	s_or_b32 exec_lo, exec_lo, s0
	s_and_saveexec_b32 s0, s4
; %bb.40:
	v_cmp_lt_i32_e32 vcc_lo, 4, v14
	v_mov_b32_e32 v11, 0
	v_mov_b32_e32 v8, v4
	v_mov_b32_e32 v12, 0
	v_mov_b32_e32 v7, v3
	s_andn2_b32 s2, s2, exec_lo
	s_and_b32 s4, vcc_lo, exec_lo
	s_mov_b32 s3, exec_lo
	s_or_b32 s2, s2, s4
; %bb.41:
	s_or_b32 exec_lo, exec_lo, s0
	v_mov_b32_e32 v9, 0
	v_mov_b32_e32 v10, 0
	s_and_saveexec_b32 s0, s2
	s_cbranch_execz .LBB0_43
; %bb.42:
	global_load_ubyte v9, v[5:6], off offset:4
	s_or_b32 s3, s3, exec_lo
	s_waitcnt vmcnt(0)
	v_xor_b32_e32 v12, v9, v12
	v_mov_b32_e32 v9, v11
	v_mov_b32_e32 v10, v12
.LBB0_43:
	s_or_b32 exec_lo, exec_lo, s0
	s_mov_b32 s4, 0
	s_mov_b32 s2, 0
	s_and_saveexec_b32 s0, s3
	s_xor_b32 s0, exec_lo, s0
	s_cbranch_execz .LBB0_45
; %bb.44:
	global_load_ubyte v11, v[5:6], off offset:3
	s_mov_b32 s2, exec_lo
	s_waitcnt vmcnt(0)
	v_lshlrev_b32_e32 v11, 24, v11
	v_xor_b32_e32 v9, v11, v9
.LBB0_45:
	s_or_b32 exec_lo, exec_lo, s0
	s_mov_b32 s0, 0
	s_and_saveexec_b32 s3, s1
	s_cbranch_execz .LBB0_49
; %bb.46:
	s_mov_b32 s1, 0
	s_mov_b32 s0, -1
	s_mov_b32 s4, s2
	s_mov_b32 s5, exec_lo
	v_cmpx_lt_i32_e32 1, v14
; %bb.47:
	v_cmp_lt_i32_e32 vcc_lo, 2, v14
	s_andn2_b32 s4, s2, exec_lo
	s_mov_b32 s1, exec_lo
	s_xor_b32 s0, exec_lo, -1
	s_and_b32 s6, vcc_lo, exec_lo
	s_or_b32 s4, s4, s6
; %bb.48:
	s_or_b32 exec_lo, exec_lo, s5
	v_mov_b32_e32 v9, 0
	v_mov_b32_e32 v8, v4
	v_mov_b32_e32 v10, 0
	v_mov_b32_e32 v7, v3
	s_andn2_b32 s2, s2, exec_lo
	s_and_b32 s5, s4, exec_lo
	s_and_b32 s0, s0, exec_lo
	;; [unrolled: 1-line block ×3, first 2 shown]
	s_or_b32 s2, s2, s5
.LBB0_49:
	s_or_b32 exec_lo, exec_lo, s3
	v_mov_b32_e32 v11, 0
	v_mov_b32_e32 v12, 0
	s_and_saveexec_b32 s1, s2
	s_cbranch_execz .LBB0_51
; %bb.50:
	global_load_ubyte v11, v[5:6], off offset:2
	s_or_b32 s4, s4, exec_lo
	s_waitcnt vmcnt(0)
	v_lshlrev_b32_e32 v11, 16, v11
	v_xor_b32_e32 v9, v11, v9
	v_mov_b32_e32 v12, v10
	v_mov_b32_e32 v11, v9
.LBB0_51:
	s_or_b32 exec_lo, exec_lo, s1
	s_mov_b32 s1, 0
	s_and_saveexec_b32 s2, s4
	s_xor_b32 s2, exec_lo, s2
	s_cbranch_execnz .LBB0_57
; %bb.52:
	s_or_b32 exec_lo, exec_lo, s2
	s_and_saveexec_b32 s2, s0
	s_cbranch_execnz .LBB0_58
.LBB0_53:
	s_or_b32 exec_lo, exec_lo, s2
	s_and_saveexec_b32 s0, s1
	s_cbranch_execz .LBB0_55
.LBB0_54:
	global_load_ubyte v3, v[5:6], off
	v_mul_lo_u32 v4, 0x114253d5, v12
	s_waitcnt vmcnt(0)
	v_xor_b32_e32 v3, v11, v3
	v_mul_lo_u32 v5, 0x87c37b91, v3
	v_mul_hi_u32 v6, 0x114253d5, v3
	v_mul_lo_u32 v9, 0x88a129ea, v3
	v_add3_u32 v5, v6, v5, v4
	v_mad_u64_u32 v[3:4], null, 0x80000000, v3, 0
	v_lshlrev_b32_e32 v6, 31, v12
	v_lshrrev_b32_e32 v5, 1, v5
	v_add3_u32 v4, v4, v9, v6
	v_or_b32_e32 v3, v5, v3
	v_mul_lo_u32 v5, 0x2745937f, v4
	v_mul_lo_u32 v6, 0x4cf5ad43, v3
	v_mad_u64_u32 v[3:4], null, 0x2745937f, v3, 0
	v_add3_u32 v4, v4, v6, v5
	v_xor_b32_e32 v1, v3, v1
	v_xor_b32_e32 v2, v4, v2
.LBB0_55:
	s_or_b32 exec_lo, exec_lo, s0
	v_xor_b32_e32 v1, v1, v13
	v_xor_b32_e32 v3, v7, v13
	v_add_co_u32 v1, vcc_lo, v1, v3
	v_add_co_ci_u32_e64 v2, null, v2, v8, vcc_lo
	v_add_co_u32 v3, vcc_lo, v1, v3
	v_add_co_ci_u32_e64 v4, null, v2, v8, vcc_lo
	v_lshrrev_b32_e32 v5, 1, v2
	v_lshrrev_b32_e32 v6, 1, v4
	v_xor_b32_e32 v1, v5, v1
	v_mul_lo_u32 v5, 0xed558ccd, v2
	v_xor_b32_e32 v3, v6, v3
	v_mul_lo_u32 v6, 0xed558ccd, v4
	v_mul_lo_u32 v7, 0xff51afd7, v1
	v_mad_u64_u32 v[1:2], null, 0xed558ccd, v1, 0
	v_mul_lo_u32 v8, 0xff51afd7, v3
	v_mad_u64_u32 v[3:4], null, 0xed558ccd, v3, 0
	v_add3_u32 v2, v2, v7, v5
	v_add3_u32 v4, v4, v8, v6
	v_lshrrev_b32_e32 v5, 1, v2
	v_lshrrev_b32_e32 v6, 1, v4
	v_xor_b32_e32 v1, v5, v1
	v_mul_lo_u32 v5, 0x1a85ec53, v2
	v_xor_b32_e32 v3, v6, v3
	v_mul_lo_u32 v6, 0x1a85ec53, v4
	v_mul_lo_u32 v7, 0xc4ceb9fe, v1
	v_mad_u64_u32 v[1:2], null, 0x1a85ec53, v1, 0
	v_mul_lo_u32 v8, 0xc4ceb9fe, v3
	v_mad_u64_u32 v[3:4], null, 0x1a85ec53, v3, 0
	v_add3_u32 v7, v2, v7, v5
	v_mov_b32_e32 v5, 0
	v_add3_u32 v6, v4, v8, v6
	v_lshlrev_b32_e32 v4, 1, v0
	v_lshrrev_b32_e32 v2, 1, v7
	v_lshrrev_b32_e32 v8, 1, v6
	v_xor_b32_e32 v0, v2, v1
	v_xor_b32_e32 v8, v8, v3
	v_lshlrev_b64 v[2:3], 3, v[4:5]
	v_add_co_u32 v0, vcc_lo, v8, v0
	v_add_co_ci_u32_e64 v1, null, v6, v7, vcc_lo
	v_add_co_u32 v4, vcc_lo, s10, v2
	v_add_co_ci_u32_e64 v5, null, s11, v3, vcc_lo
	;; [unrolled: 2-line block ×3, first 2 shown]
	global_store_dwordx4 v[4:5], v[0:3], off
.LBB0_56:
	s_endpgm
.LBB0_57:
	global_load_ubyte v9, v[5:6], off offset:1
	s_mov_b32 s1, exec_lo
	s_waitcnt vmcnt(0)
	v_lshlrev_b32_e32 v9, 8, v9
	v_xor_b32_e32 v11, v9, v11
	s_or_b32 exec_lo, exec_lo, s2
	s_and_saveexec_b32 s2, s0
	s_cbranch_execz .LBB0_53
.LBB0_58:
	v_cmp_eq_u32_e32 vcc_lo, 1, v14
	v_mov_b32_e32 v11, 0
	v_mov_b32_e32 v8, v4
	;; [unrolled: 1-line block ×4, first 2 shown]
	s_andn2_b32 s0, s1, exec_lo
	s_and_b32 s1, vcc_lo, exec_lo
	s_or_b32 s1, s0, s1
	s_or_b32 exec_lo, exec_lo, s2
	s_and_saveexec_b32 s0, s1
	s_cbranch_execnz .LBB0_54
	s_branch .LBB0_55
	.section	.rodata,"a",@progbits
	.p2align	6, 0x0
	.amdhsa_kernel _Z26MurmurHash3_x64_128_kernelPKhPKjS2_Pmj
		.amdhsa_group_segment_fixed_size 0
		.amdhsa_private_segment_fixed_size 0
		.amdhsa_kernarg_size 296
		.amdhsa_user_sgpr_count 6
		.amdhsa_user_sgpr_private_segment_buffer 1
		.amdhsa_user_sgpr_dispatch_ptr 0
		.amdhsa_user_sgpr_queue_ptr 0
		.amdhsa_user_sgpr_kernarg_segment_ptr 1
		.amdhsa_user_sgpr_dispatch_id 0
		.amdhsa_user_sgpr_flat_scratch_init 0
		.amdhsa_user_sgpr_private_segment_size 0
		.amdhsa_wavefront_size32 1
		.amdhsa_uses_dynamic_stack 0
		.amdhsa_system_sgpr_private_segment_wavefront_offset 0
		.amdhsa_system_sgpr_workgroup_id_x 1
		.amdhsa_system_sgpr_workgroup_id_y 0
		.amdhsa_system_sgpr_workgroup_id_z 0
		.amdhsa_system_sgpr_workgroup_info 0
		.amdhsa_system_vgpr_workitem_id 0
		.amdhsa_next_free_vgpr 30
		.amdhsa_next_free_sgpr 12
		.amdhsa_reserve_vcc 1
		.amdhsa_reserve_flat_scratch 0
		.amdhsa_float_round_mode_32 0
		.amdhsa_float_round_mode_16_64 0
		.amdhsa_float_denorm_mode_32 3
		.amdhsa_float_denorm_mode_16_64 3
		.amdhsa_dx10_clamp 1
		.amdhsa_ieee_mode 1
		.amdhsa_fp16_overflow 0
		.amdhsa_workgroup_processor_mode 1
		.amdhsa_memory_ordered 1
		.amdhsa_forward_progress 1
		.amdhsa_shared_vgpr_count 0
		.amdhsa_exception_fp_ieee_invalid_op 0
		.amdhsa_exception_fp_denorm_src 0
		.amdhsa_exception_fp_ieee_div_zero 0
		.amdhsa_exception_fp_ieee_overflow 0
		.amdhsa_exception_fp_ieee_underflow 0
		.amdhsa_exception_fp_ieee_inexact 0
		.amdhsa_exception_int_div_zero 0
	.end_amdhsa_kernel
	.text
.Lfunc_end0:
	.size	_Z26MurmurHash3_x64_128_kernelPKhPKjS2_Pmj, .Lfunc_end0-_Z26MurmurHash3_x64_128_kernelPKhPKjS2_Pmj
                                        ; -- End function
	.set _Z26MurmurHash3_x64_128_kernelPKhPKjS2_Pmj.num_vgpr, 30
	.set _Z26MurmurHash3_x64_128_kernelPKhPKjS2_Pmj.num_agpr, 0
	.set _Z26MurmurHash3_x64_128_kernelPKhPKjS2_Pmj.numbered_sgpr, 12
	.set _Z26MurmurHash3_x64_128_kernelPKhPKjS2_Pmj.num_named_barrier, 0
	.set _Z26MurmurHash3_x64_128_kernelPKhPKjS2_Pmj.private_seg_size, 0
	.set _Z26MurmurHash3_x64_128_kernelPKhPKjS2_Pmj.uses_vcc, 1
	.set _Z26MurmurHash3_x64_128_kernelPKhPKjS2_Pmj.uses_flat_scratch, 0
	.set _Z26MurmurHash3_x64_128_kernelPKhPKjS2_Pmj.has_dyn_sized_stack, 0
	.set _Z26MurmurHash3_x64_128_kernelPKhPKjS2_Pmj.has_recursion, 0
	.set _Z26MurmurHash3_x64_128_kernelPKhPKjS2_Pmj.has_indirect_call, 0
	.section	.AMDGPU.csdata,"",@progbits
; Kernel info:
; codeLenInByte = 2608
; TotalNumSgprs: 14
; NumVgprs: 30
; ScratchSize: 0
; MemoryBound: 0
; FloatMode: 240
; IeeeMode: 1
; LDSByteSize: 0 bytes/workgroup (compile time only)
; SGPRBlocks: 0
; VGPRBlocks: 3
; NumSGPRsForWavesPerEU: 14
; NumVGPRsForWavesPerEU: 30
; Occupancy: 16
; WaveLimiterHint : 1
; COMPUTE_PGM_RSRC2:SCRATCH_EN: 0
; COMPUTE_PGM_RSRC2:USER_SGPR: 6
; COMPUTE_PGM_RSRC2:TRAP_HANDLER: 0
; COMPUTE_PGM_RSRC2:TGID_X_EN: 1
; COMPUTE_PGM_RSRC2:TGID_Y_EN: 0
; COMPUTE_PGM_RSRC2:TGID_Z_EN: 0
; COMPUTE_PGM_RSRC2:TIDIG_COMP_CNT: 0
	.text
	.p2alignl 6, 3214868480
	.fill 48, 4, 3214868480
	.section	.AMDGPU.gpr_maximums,"",@progbits
	.set amdgpu.max_num_vgpr, 0
	.set amdgpu.max_num_agpr, 0
	.set amdgpu.max_num_sgpr, 0
	.text
	.type	__hip_cuid_d80d4b20f6298174,@object ; @__hip_cuid_d80d4b20f6298174
	.section	.bss,"aw",@nobits
	.globl	__hip_cuid_d80d4b20f6298174
__hip_cuid_d80d4b20f6298174:
	.byte	0                               ; 0x0
	.size	__hip_cuid_d80d4b20f6298174, 1

	.ident	"AMD clang version 22.0.0git (https://github.com/RadeonOpenCompute/llvm-project roc-7.2.4 26084 f58b06dce1f9c15707c5f808fd002e18c2accf7e)"
	.section	".note.GNU-stack","",@progbits
	.addrsig
	.addrsig_sym __hip_cuid_d80d4b20f6298174
	.amdgpu_metadata
---
amdhsa.kernels:
  - .args:
      - .actual_access:  read_only
        .address_space:  global
        .offset:         0
        .size:           8
        .value_kind:     global_buffer
      - .actual_access:  read_only
        .address_space:  global
        .offset:         8
        .size:           8
        .value_kind:     global_buffer
      - .actual_access:  read_only
        .address_space:  global
        .offset:         16
        .size:           8
        .value_kind:     global_buffer
      - .actual_access:  write_only
        .address_space:  global
        .offset:         24
        .size:           8
        .value_kind:     global_buffer
      - .offset:         32
        .size:           4
        .value_kind:     by_value
      - .offset:         40
        .size:           4
        .value_kind:     hidden_block_count_x
      - .offset:         44
        .size:           4
        .value_kind:     hidden_block_count_y
      - .offset:         48
        .size:           4
        .value_kind:     hidden_block_count_z
      - .offset:         52
        .size:           2
        .value_kind:     hidden_group_size_x
      - .offset:         54
        .size:           2
        .value_kind:     hidden_group_size_y
      - .offset:         56
        .size:           2
        .value_kind:     hidden_group_size_z
      - .offset:         58
        .size:           2
        .value_kind:     hidden_remainder_x
      - .offset:         60
        .size:           2
        .value_kind:     hidden_remainder_y
      - .offset:         62
        .size:           2
        .value_kind:     hidden_remainder_z
      - .offset:         80
        .size:           8
        .value_kind:     hidden_global_offset_x
      - .offset:         88
        .size:           8
        .value_kind:     hidden_global_offset_y
      - .offset:         96
        .size:           8
        .value_kind:     hidden_global_offset_z
      - .offset:         104
        .size:           2
        .value_kind:     hidden_grid_dims
    .group_segment_fixed_size: 0
    .kernarg_segment_align: 8
    .kernarg_segment_size: 296
    .language:       OpenCL C
    .language_version:
      - 2
      - 0
    .max_flat_workgroup_size: 1024
    .name:           _Z26MurmurHash3_x64_128_kernelPKhPKjS2_Pmj
    .private_segment_fixed_size: 0
    .sgpr_count:     14
    .sgpr_spill_count: 0
    .symbol:         _Z26MurmurHash3_x64_128_kernelPKhPKjS2_Pmj.kd
    .uniform_work_group_size: 1
    .uses_dynamic_stack: false
    .vgpr_count:     30
    .vgpr_spill_count: 0
    .wavefront_size: 32
    .workgroup_processor_mode: 1
amdhsa.target:   amdgcn-amd-amdhsa--gfx1030
amdhsa.version:
  - 1
  - 2
...

	.end_amdgpu_metadata
